;; amdgpu-corpus repo=ROCm/rocFFT kind=compiled arch=gfx1201 opt=O3
	.text
	.amdgcn_target "amdgcn-amd-amdhsa--gfx1201"
	.amdhsa_code_object_version 6
	.protected	bluestein_single_back_len1125_dim1_sp_op_CI_CI ; -- Begin function bluestein_single_back_len1125_dim1_sp_op_CI_CI
	.globl	bluestein_single_back_len1125_dim1_sp_op_CI_CI
	.p2align	8
	.type	bluestein_single_back_len1125_dim1_sp_op_CI_CI,@function
bluestein_single_back_len1125_dim1_sp_op_CI_CI: ; @bluestein_single_back_len1125_dim1_sp_op_CI_CI
; %bb.0:
	s_load_b128 s[12:15], s[0:1], 0x28
	v_mul_u32_u24_e32 v1, 0x124, v0
	s_mov_b32 s2, exec_lo
	v_mov_b32_e32 v33, 0
	s_delay_alu instid0(VALU_DEP_2) | instskip(NEXT) | instid1(VALU_DEP_1)
	v_lshrrev_b32_e32 v1, 16, v1
	v_add_nc_u32_e32 v32, ttmp9, v1
	s_wait_kmcnt 0x0
	s_delay_alu instid0(VALU_DEP_1)
	v_cmpx_gt_u64_e64 s[12:13], v[32:33]
	s_cbranch_execz .LBB0_18
; %bb.1:
	s_clause 0x1
	s_load_b128 s[4:7], s[0:1], 0x18
	s_load_b128 s[8:11], s[0:1], 0x0
	v_mul_lo_u16 v1, 0xe1, v1
	s_load_b64 s[0:1], s[0:1], 0x38
	s_delay_alu instid0(VALU_DEP_1) | instskip(NEXT) | instid1(VALU_DEP_1)
	v_sub_nc_u16 v8, v0, v1
	v_and_b32_e32 v49, 0xffff, v8
	s_delay_alu instid0(VALU_DEP_1)
	v_lshlrev_b32_e32 v50, 3, v49
	s_wait_kmcnt 0x0
	s_load_b128 s[16:19], s[4:5], 0x0
	s_clause 0x2
	global_load_b64 v[35:36], v50, s[8:9]
	global_load_b64 v[37:38], v50, s[8:9] offset:1800
	global_load_b64 v[33:34], v50, s[8:9] offset:3600
	s_wait_kmcnt 0x0
	v_mad_co_u64_u32 v[0:1], null, s18, v32, 0
	v_mad_co_u64_u32 v[2:3], null, s16, v49, 0
	s_mul_u64 s[2:3], s[16:17], 0x708
	s_delay_alu instid0(VALU_DEP_1) | instskip(NEXT) | instid1(VALU_DEP_1)
	v_mad_co_u64_u32 v[4:5], null, s19, v32, v[1:2]
	v_mad_co_u64_u32 v[5:6], null, s17, v49, v[3:4]
	v_mov_b32_e32 v1, v4
	s_delay_alu instid0(VALU_DEP_1) | instskip(NEXT) | instid1(VALU_DEP_3)
	v_lshlrev_b64_e32 v[0:1], 3, v[0:1]
	v_mov_b32_e32 v3, v5
	s_delay_alu instid0(VALU_DEP_2) | instskip(NEXT) | instid1(VALU_DEP_2)
	v_add_co_u32 v0, vcc_lo, s14, v0
	v_lshlrev_b64_e32 v[2:3], 3, v[2:3]
	s_delay_alu instid0(VALU_DEP_4) | instskip(NEXT) | instid1(VALU_DEP_2)
	v_add_co_ci_u32_e32 v1, vcc_lo, s15, v1, vcc_lo
	v_add_co_u32 v0, vcc_lo, v0, v2
	s_wait_alu 0xfffd
	s_delay_alu instid0(VALU_DEP_2) | instskip(NEXT) | instid1(VALU_DEP_2)
	v_add_co_ci_u32_e32 v1, vcc_lo, v1, v3, vcc_lo
	v_add_co_u32 v2, vcc_lo, v0, s2
	s_wait_alu 0xfffd
	s_delay_alu instid0(VALU_DEP_2) | instskip(NEXT) | instid1(VALU_DEP_2)
	v_add_co_ci_u32_e32 v3, vcc_lo, s3, v1, vcc_lo
	v_add_co_u32 v4, vcc_lo, v2, s2
	s_wait_alu 0xfffd
	s_delay_alu instid0(VALU_DEP_2)
	v_add_co_ci_u32_e32 v5, vcc_lo, s3, v3, vcc_lo
	s_clause 0x1
	global_load_b64 v[0:1], v[0:1], off
	global_load_b64 v[2:3], v[2:3], off
	v_add_co_u32 v6, vcc_lo, v4, s2
	s_wait_alu 0xfffd
	v_add_co_ci_u32_e32 v7, vcc_lo, s3, v5, vcc_lo
	global_load_b64 v[4:5], v[4:5], off
	v_add_co_u32 v9, vcc_lo, v6, s2
	s_wait_alu 0xfffd
	v_add_co_ci_u32_e32 v10, vcc_lo, s3, v7, vcc_lo
	global_load_b64 v[39:40], v50, s[8:9] offset:5400
	global_load_b64 v[6:7], v[6:7], off
	global_load_b64 v[41:42], v50, s[8:9] offset:7200
	global_load_b64 v[9:10], v[9:10], off
	v_and_b32_e32 v11, 0xff, v8
	s_load_b128 s[4:7], s[6:7], 0x0
	v_cmp_gt_u16_e32 vcc_lo, 0x96, v8
	s_delay_alu instid0(VALU_DEP_2) | instskip(NEXT) | instid1(VALU_DEP_1)
	v_mul_lo_u16 v12, 0xcd, v11
	v_lshrrev_b16 v19, 10, v12
	s_wait_loadcnt 0x6
	v_mul_f32_e32 v11, v1, v36
	s_wait_loadcnt 0x5
	v_dual_mul_f32 v12, v0, v36 :: v_dual_mul_f32 v13, v3, v38
	s_delay_alu instid0(VALU_DEP_2)
	v_dual_mul_f32 v14, v2, v38 :: v_dual_fmac_f32 v11, v0, v35
	s_wait_loadcnt 0x4
	v_mul_f32_e32 v0, v5, v34
	v_add_nc_u32_e32 v15, 0xe00, v50
	v_fma_f32 v12, v1, v35, -v12
	v_fmac_f32_e32 v13, v2, v37
	v_fma_f32 v14, v3, v37, -v14
	s_wait_loadcnt 0x0
	v_mul_f32_e32 v16, v9, v42
	v_mul_f32_e32 v1, v4, v34
	v_fmac_f32_e32 v0, v4, v33
	v_mul_f32_e32 v2, v7, v40
	v_mul_f32_e32 v3, v6, v40
	;; [unrolled: 1-line block ×3, first 2 shown]
	s_delay_alu instid0(VALU_DEP_3) | instskip(NEXT) | instid1(VALU_DEP_3)
	v_fmac_f32_e32 v2, v6, v39
	v_fma_f32 v3, v7, v39, -v3
	s_delay_alu instid0(VALU_DEP_3)
	v_fmac_f32_e32 v4, v9, v41
	v_fma_f32 v1, v5, v33, -v1
	v_fma_f32 v5, v10, v41, -v16
	ds_store_2addr_b64 v50, v[11:12], v[13:14] offset1:225
	ds_store_2addr_b64 v15, v[0:1], v[2:3] offset0:2 offset1:227
	ds_store_b64 v50, v[4:5] offset:7200
	global_wb scope:SCOPE_SE
	s_wait_dscnt 0x0
	s_wait_kmcnt 0x0
	s_barrier_signal -1
	s_barrier_wait -1
	global_inv scope:SCOPE_SE
	ds_load_2addr_b64 v[0:3], v50 offset1:225
	ds_load_2addr_b64 v[4:7], v15 offset0:2 offset1:227
	ds_load_b64 v[9:10], v50 offset:7200
	v_mul_lo_u16 v16, v19, 5
	v_mul_lo_u16 v11, v8, 5
	global_wb scope:SCOPE_SE
	s_wait_dscnt 0x0
	s_barrier_signal -1
	s_barrier_wait -1
	v_sub_nc_u16 v12, v8, v16
	v_and_b32_e32 v11, 0xffff, v11
	global_inv scope:SCOPE_SE
	v_and_b32_e32 v20, 0xff, v12
	v_add_f32_e32 v12, v0, v2
	v_dual_add_f32 v13, v4, v6 :: v_dual_add_f32 v24, v1, v3
	v_sub_f32_e32 v27, v4, v6
	v_dual_add_f32 v25, v5, v7 :: v_dual_sub_f32 v26, v2, v9
	v_dual_sub_f32 v18, v9, v6 :: v_dual_add_f32 v21, v2, v9
	v_dual_add_f32 v30, v3, v10 :: v_dual_sub_f32 v31, v5, v3
	v_lshlrev_b32_e32 v52, 3, v11
	v_dual_sub_f32 v14, v3, v10 :: v_dual_lshlrev_b32 v11, 5, v20
	v_dual_sub_f32 v16, v5, v7 :: v_dual_sub_f32 v17, v2, v4
	v_dual_sub_f32 v22, v4, v2 :: v_dual_sub_f32 v23, v6, v9
	;; [unrolled: 1-line block ×3, first 2 shown]
	v_dual_sub_f32 v43, v7, v10 :: v_dual_add_f32 v4, v12, v4
	v_fma_f32 v2, -0.5, v13, v0
	v_add_f32_e32 v5, v24, v5
	v_fma_f32 v3, -0.5, v25, v1
	v_fma_f32 v0, -0.5, v21, v0
	;; [unrolled: 1-line block ×3, first 2 shown]
	v_dual_add_f32 v12, v17, v18 :: v_dual_add_f32 v13, v22, v23
	v_dual_add_f32 v17, v28, v29 :: v_dual_add_f32 v18, v31, v43
	v_dual_add_f32 v21, v4, v6 :: v_dual_fmamk_f32 v4, v14, 0x3f737871, v2
	v_fmac_f32_e32 v2, 0xbf737871, v14
	v_dual_add_f32 v22, v5, v7 :: v_dual_fmamk_f32 v5, v26, 0xbf737871, v3
	v_fmac_f32_e32 v3, 0x3f737871, v26
	v_fmamk_f32 v6, v16, 0xbf737871, v0
	v_dual_fmac_f32 v0, 0x3f737871, v16 :: v_dual_fmamk_f32 v7, v27, 0x3f737871, v1
	s_delay_alu instid0(VALU_DEP_4)
	v_dual_add_f32 v10, v22, v10 :: v_dual_fmac_f32 v1, 0xbf737871, v27
	v_dual_add_f32 v9, v21, v9 :: v_dual_fmac_f32 v4, 0x3f167918, v16
	v_dual_fmac_f32 v2, 0xbf167918, v16 :: v_dual_fmac_f32 v5, 0xbf167918, v27
	v_dual_fmac_f32 v6, 0x3f167918, v14 :: v_dual_fmac_f32 v3, 0x3f167918, v27
	v_fmac_f32_e32 v0, 0xbf167918, v14
	v_fmac_f32_e32 v7, 0xbf167918, v26
	;; [unrolled: 1-line block ×3, first 2 shown]
	v_dual_fmac_f32 v4, 0x3e9e377a, v12 :: v_dual_fmac_f32 v5, 0x3e9e377a, v17
	s_delay_alu instid0(VALU_DEP_3) | instskip(NEXT) | instid1(VALU_DEP_3)
	v_dual_fmac_f32 v2, 0x3e9e377a, v12 :: v_dual_fmac_f32 v7, 0x3e9e377a, v18
	v_dual_fmac_f32 v6, 0x3e9e377a, v13 :: v_dual_fmac_f32 v1, 0x3e9e377a, v18
	v_fmac_f32_e32 v0, 0x3e9e377a, v13
	v_fmac_f32_e32 v3, 0x3e9e377a, v17
	ds_store_2addr_b64 v52, v[9:10], v[4:5] offset1:1
	ds_store_2addr_b64 v52, v[6:7], v[0:1] offset0:2 offset1:3
	ds_store_b64 v52, v[2:3] offset:32
	global_wb scope:SCOPE_SE
	s_wait_dscnt 0x0
	s_barrier_signal -1
	s_barrier_wait -1
	global_inv scope:SCOPE_SE
	s_clause 0x1
	global_load_b128 v[4:7], v11, s[10:11]
	global_load_b128 v[0:3], v11, s[10:11] offset:16
	ds_load_2addr_b64 v[9:12], v50 offset1:225
	ds_load_2addr_b64 v[13:16], v15 offset0:2 offset1:227
	ds_load_b64 v[17:18], v50 offset:7200
	v_and_b32_e32 v19, 0xffff, v19
	global_wb scope:SCOPE_SE
	s_wait_loadcnt_dscnt 0x0
	s_barrier_signal -1
	s_barrier_wait -1
	global_inv scope:SCOPE_SE
	v_dual_mul_f32 v21, v14, v7 :: v_dual_mul_f32 v26, v15, v1
	v_mul_u32_u24_e32 v19, 25, v19
	v_dual_mul_f32 v22, v13, v7 :: v_dual_mul_f32 v23, v16, v1
	v_mul_f32_e32 v24, v18, v3
	v_mul_f32_e32 v27, v17, v3
	s_delay_alu instid0(VALU_DEP_4) | instskip(NEXT) | instid1(VALU_DEP_4)
	v_add_lshl_u32 v51, v19, v20, 3
	v_dual_fmac_f32 v22, v14, v6 :: v_dual_mul_f32 v19, v12, v5
	s_delay_alu instid0(VALU_DEP_3) | instskip(SKIP_2) | instid1(VALU_DEP_4)
	v_dual_mul_f32 v20, v11, v5 :: v_dual_fmac_f32 v27, v18, v2
	v_fmac_f32_e32 v26, v16, v0
	v_fma_f32 v14, v17, v2, -v24
	v_fma_f32 v11, v11, v4, -v19
	s_delay_alu instid0(VALU_DEP_4) | instskip(SKIP_2) | instid1(VALU_DEP_4)
	v_fmac_f32_e32 v20, v12, v4
	v_fma_f32 v12, v13, v6, -v21
	v_fma_f32 v13, v15, v0, -v23
	v_dual_add_f32 v30, v22, v26 :: v_dual_add_f32 v15, v9, v11
	s_delay_alu instid0(VALU_DEP_4) | instskip(NEXT) | instid1(VALU_DEP_3)
	v_dual_sub_f32 v18, v20, v27 :: v_dual_sub_f32 v19, v22, v26
	v_dual_add_f32 v16, v12, v13 :: v_dual_sub_f32 v17, v11, v12
	v_dual_sub_f32 v28, v13, v14 :: v_dual_sub_f32 v21, v14, v13
	v_dual_sub_f32 v44, v27, v26 :: v_dual_sub_f32 v25, v12, v11
	v_add_f32_e32 v23, v11, v14
	v_dual_sub_f32 v31, v11, v14 :: v_dual_sub_f32 v46, v26, v27
	v_add_f32_e32 v29, v10, v20
	v_sub_f32_e32 v11, v20, v22
	v_dual_add_f32 v45, v20, v27 :: v_dual_sub_f32 v20, v22, v20
	v_dual_sub_f32 v43, v12, v13 :: v_dual_add_f32 v12, v15, v12
	v_fma_f32 v16, -0.5, v16, v9
	v_add_f32_e32 v15, v17, v21
	v_fma_f32 v17, -0.5, v30, v10
	v_fma_f32 v24, -0.5, v23, v9
	v_add_f32_e32 v20, v20, v46
	v_add_f32_e32 v22, v29, v22
	;; [unrolled: 1-line block ×3, first 2 shown]
	v_fma_f32 v25, -0.5, v45, v10
	v_dual_add_f32 v13, v12, v13 :: v_dual_fmamk_f32 v10, v31, 0xbf737871, v17
	v_fmamk_f32 v9, v18, 0x3f737871, v16
	v_fmac_f32_e32 v16, 0xbf737871, v18
	s_delay_alu instid0(VALU_DEP_4)
	v_fmamk_f32 v12, v43, 0x3f737871, v25
	v_dual_add_f32 v23, v11, v44 :: v_dual_add_f32 v22, v22, v26
	v_fmamk_f32 v11, v19, 0xbf737871, v24
	v_fmac_f32_e32 v24, 0x3f737871, v19
	v_fmac_f32_e32 v25, 0xbf737871, v43
	;; [unrolled: 1-line block ×3, first 2 shown]
	v_dual_add_f32 v13, v13, v14 :: v_dual_fmac_f32 v10, 0xbf167918, v43
	v_fmac_f32_e32 v9, 0x3f167918, v19
	v_fmac_f32_e32 v16, 0xbf167918, v19
	;; [unrolled: 1-line block ×3, first 2 shown]
	v_dual_add_f32 v14, v22, v27 :: v_dual_fmac_f32 v11, 0x3f167918, v18
	v_fmac_f32_e32 v12, 0xbf167918, v31
	v_fmac_f32_e32 v25, 0x3f167918, v31
	;; [unrolled: 1-line block ×3, first 2 shown]
	v_dual_fmac_f32 v9, 0x3e9e377a, v15 :: v_dual_fmac_f32 v24, 0x3e9e377a, v21
	s_delay_alu instid0(VALU_DEP_3) | instskip(SKIP_1) | instid1(VALU_DEP_4)
	v_dual_fmac_f32 v10, 0x3e9e377a, v23 :: v_dual_fmac_f32 v25, 0x3e9e377a, v20
	v_dual_fmac_f32 v16, 0x3e9e377a, v15 :: v_dual_fmac_f32 v11, 0x3e9e377a, v21
	;; [unrolled: 1-line block ×3, first 2 shown]
	ds_store_2addr_b64 v51, v[13:14], v[9:10] offset1:5
	ds_store_2addr_b64 v51, v[11:12], v[24:25] offset0:10 offset1:15
	ds_store_b64 v51, v[16:17] offset:160
	global_wb scope:SCOPE_SE
	s_wait_dscnt 0x0
	s_barrier_signal -1
	s_barrier_wait -1
	global_inv scope:SCOPE_SE
	ds_load_b64 v[18:19], v50
	ds_load_b64 v[22:23], v50 offset:3000
	ds_load_b64 v[26:27], v50 offset:6000
                                        ; implicit-def: $vgpr20
	s_and_saveexec_b32 s2, vcc_lo
	s_cbranch_execz .LBB0_3
; %bb.2:
	ds_load_b64 v[24:25], v50 offset:1800
	ds_load_b64 v[16:17], v50 offset:4800
	;; [unrolled: 1-line block ×3, first 2 shown]
.LBB0_3:
	s_wait_alu 0xfffe
	s_or_b32 exec_lo, exec_lo, s2
	v_add_nc_u16 v56, v49, 0xe1
	v_and_b32_e32 v57, 0xff, v49
	s_delay_alu instid0(VALU_DEP_2) | instskip(NEXT) | instid1(VALU_DEP_2)
	v_and_b32_e32 v58, 0xffff, v56
	v_mul_lo_u16 v9, v57, 41
	s_delay_alu instid0(VALU_DEP_2) | instskip(NEXT) | instid1(VALU_DEP_2)
	v_mul_u32_u24_e32 v8, 0x47af, v58
	v_lshrrev_b16 v28, 10, v9
	s_delay_alu instid0(VALU_DEP_2) | instskip(NEXT) | instid1(VALU_DEP_2)
	v_lshrrev_b32_e32 v8, 16, v8
	v_mul_lo_u16 v10, v28, 25
	s_delay_alu instid0(VALU_DEP_2) | instskip(NEXT) | instid1(VALU_DEP_2)
	v_sub_nc_u16 v9, v56, v8
	v_sub_nc_u16 v10, v49, v10
	s_delay_alu instid0(VALU_DEP_2) | instskip(NEXT) | instid1(VALU_DEP_2)
	v_lshrrev_b16 v9, 1, v9
	v_and_b32_e32 v29, 0xff, v10
	s_delay_alu instid0(VALU_DEP_2) | instskip(NEXT) | instid1(VALU_DEP_1)
	v_add_nc_u16 v8, v9, v8
	v_lshrrev_b16 v53, 4, v8
	s_delay_alu instid0(VALU_DEP_3) | instskip(NEXT) | instid1(VALU_DEP_2)
	v_lshlrev_b32_e32 v8, 4, v29
	v_mul_lo_u16 v9, v53, 25
	global_load_b128 v[12:15], v8, s[10:11] offset:160
	v_sub_nc_u16 v54, v56, v9
	s_delay_alu instid0(VALU_DEP_1) | instskip(SKIP_1) | instid1(VALU_DEP_1)
	v_lshlrev_b16 v8, 4, v54
	s_wait_loadcnt_dscnt 0x1
	v_dual_mul_f32 v43, v22, v13 :: v_dual_and_b32 v8, 0xffff, v8
	s_delay_alu instid0(VALU_DEP_1)
	v_add_co_u32 v8, s2, s10, v8
	s_wait_alu 0xf1ff
	v_add_co_ci_u32_e64 v9, null, s11, 0, s2
	v_mul_f32_e32 v30, v23, v13
	s_wait_dscnt 0x0
	v_mul_f32_e32 v31, v27, v15
	v_mul_f32_e32 v44, v26, v15
	global_load_b128 v[8:11], v[8:9], off offset:160
	v_fmac_f32_e32 v43, v23, v12
	v_fma_f32 v22, v22, v12, -v30
	v_fma_f32 v26, v26, v14, -v31
	v_and_b32_e32 v28, 0xffff, v28
	v_fmac_f32_e32 v44, v27, v14
	global_wb scope:SCOPE_SE
	s_wait_loadcnt 0x0
	v_add_f32_e32 v27, v18, v22
	v_add_f32_e32 v23, v22, v26
	v_mul_u32_u24_e32 v28, 0x4b, v28
	v_add_f32_e32 v30, v43, v44
	s_barrier_signal -1
	s_barrier_wait -1
	v_fma_f32 v18, -0.5, v23, v18
	v_add_lshl_u32 v55, v28, v29, 3
	v_sub_f32_e32 v28, v43, v44
	v_add_f32_e32 v29, v19, v43
	v_sub_f32_e32 v43, v22, v26
	v_fmac_f32_e32 v19, -0.5, v30
	global_inv scope:SCOPE_SE
	v_fmamk_f32 v30, v28, 0x3f5db3d7, v18
	v_add_f32_e32 v22, v27, v26
	v_fmac_f32_e32 v18, 0xbf5db3d7, v28
	v_mul_f32_e32 v26, v17, v9
	v_mul_f32_e32 v27, v21, v11
	v_add_f32_e32 v23, v29, v44
	v_mul_f32_e32 v29, v16, v9
	v_mul_f32_e32 v44, v20, v11
	v_fma_f32 v16, v16, v8, -v26
	v_fma_f32 v20, v20, v10, -v27
	v_fmamk_f32 v31, v43, 0xbf5db3d7, v19
	v_fmac_f32_e32 v29, v17, v8
	v_dual_fmac_f32 v44, v21, v10 :: v_dual_fmac_f32 v19, 0x3f5db3d7, v43
	s_delay_alu instid0(VALU_DEP_2) | instskip(NEXT) | instid1(VALU_DEP_2)
	v_add_f32_e32 v27, v25, v29
	v_add_f32_e32 v26, v29, v44
	v_sub_f32_e32 v43, v29, v44
	v_add_f32_e32 v17, v16, v20
	v_add_f32_e32 v21, v24, v16
	v_sub_f32_e32 v16, v16, v20
	ds_store_2addr_b64 v55, v[22:23], v[30:31] offset1:25
	ds_store_b64 v55, v[18:19] offset:400
	v_dual_fmac_f32 v24, -0.5, v17 :: v_dual_fmac_f32 v25, -0.5, v26
	v_add_f32_e32 v26, v21, v20
	v_add_f32_e32 v27, v27, v44
	s_delay_alu instid0(VALU_DEP_3) | instskip(NEXT) | instid1(VALU_DEP_4)
	v_fmamk_f32 v28, v43, 0x3f5db3d7, v24
	v_dual_fmac_f32 v24, 0xbf5db3d7, v43 :: v_dual_fmamk_f32 v29, v16, 0xbf5db3d7, v25
	v_fmac_f32_e32 v25, 0x3f5db3d7, v16
	s_and_saveexec_b32 s2, vcc_lo
	s_cbranch_execz .LBB0_5
; %bb.4:
	v_mad_u16 v16, 0x4b, v53, v54
	s_delay_alu instid0(VALU_DEP_1) | instskip(NEXT) | instid1(VALU_DEP_1)
	v_and_b32_e32 v16, 0xffff, v16
	v_lshlrev_b32_e32 v16, 3, v16
	ds_store_2addr_b64 v16, v[26:27], v[28:29] offset1:25
	ds_store_b64 v16, v[24:25] offset:400
.LBB0_5:
	s_wait_alu 0xfffe
	s_or_b32 exec_lo, exec_lo, s2
	global_wb scope:SCOPE_SE
	s_wait_dscnt 0x0
	s_barrier_signal -1
	s_barrier_wait -1
	global_inv scope:SCOPE_SE
	ds_load_b64 v[30:31], v50
	ds_load_b64 v[47:48], v50 offset:3000
	ds_load_b64 v[43:44], v50 offset:6000
	v_add_co_u32 v45, s2, s8, v50
	s_wait_alu 0xf1ff
	v_add_co_ci_u32_e64 v46, null, s9, 0, s2
	s_and_saveexec_b32 s2, vcc_lo
	s_cbranch_execz .LBB0_7
; %bb.6:
	ds_load_b64 v[26:27], v50 offset:1800
	ds_load_b64 v[28:29], v50 offset:4800
	ds_load_b64 v[24:25], v50 offset:7800
.LBB0_7:
	s_wait_alu 0xfffe
	s_or_b32 exec_lo, exec_lo, s2
	v_mul_u32_u24_e32 v16, 0xb4e9, v58
	v_mul_lo_u16 v17, 0xdb, v57
	s_delay_alu instid0(VALU_DEP_2) | instskip(NEXT) | instid1(VALU_DEP_2)
	v_lshrrev_b32_e32 v16, 16, v16
	v_lshrrev_b16 v57, 14, v17
	s_delay_alu instid0(VALU_DEP_2) | instskip(NEXT) | instid1(VALU_DEP_1)
	v_sub_nc_u16 v18, v56, v16
	v_lshrrev_b16 v17, 1, v18
	s_delay_alu instid0(VALU_DEP_3) | instskip(NEXT) | instid1(VALU_DEP_2)
	v_mul_lo_u16 v18, 0x4b, v57
	v_add_nc_u16 v16, v17, v16
	s_delay_alu instid0(VALU_DEP_2) | instskip(NEXT) | instid1(VALU_DEP_2)
	v_sub_nc_u16 v17, v49, v18
	v_lshrrev_b16 v64, 6, v16
	s_delay_alu instid0(VALU_DEP_2) | instskip(NEXT) | instid1(VALU_DEP_2)
	v_and_b32_e32 v58, 0xff, v17
	v_mul_lo_u16 v16, 0x4b, v64
	s_delay_alu instid0(VALU_DEP_2) | instskip(NEXT) | instid1(VALU_DEP_2)
	v_lshlrev_b32_e32 v17, 4, v58
	v_sub_nc_u16 v65, v56, v16
	global_load_b128 v[20:23], v17, s[10:11] offset:560
	v_lshlrev_b16 v16, 4, v65
	s_wait_loadcnt_dscnt 0x1
	s_delay_alu instid0(VALU_DEP_1) | instskip(SKIP_2) | instid1(VALU_DEP_3)
	v_dual_mul_f32 v59, v47, v21 :: v_dual_and_b32 v16, 0xffff, v16
	v_and_b32_e32 v56, 0xffff, v57
	v_mul_f32_e32 v57, v48, v21
	v_add_co_u32 v16, s2, s10, v16
	s_wait_alu 0xf1ff
	v_add_co_ci_u32_e64 v17, null, s11, 0, s2
	s_wait_dscnt 0x0
	v_mul_f32_e32 v60, v44, v23
	v_mul_f32_e32 v61, v43, v23
	v_fma_f32 v47, v47, v20, -v57
	global_load_b128 v[16:19], v[16:17], off offset:560
	global_wb scope:SCOPE_SE
	s_wait_loadcnt 0x0
	v_fma_f32 v43, v43, v22, -v60
	v_dual_fmac_f32 v61, v44, v22 :: v_dual_add_f32 v44, v30, v47
	v_fmac_f32_e32 v59, v48, v20
	v_mul_u32_u24_e32 v56, 0xe1, v56
	s_barrier_signal -1
	s_barrier_wait -1
	v_add_f32_e32 v60, v44, v43
	v_add_f32_e32 v62, v31, v59
	v_add_lshl_u32 v56, v56, v58, 3
	v_add_f32_e32 v58, v47, v43
	v_sub_f32_e32 v63, v59, v61
	v_sub_f32_e32 v47, v47, v43
	v_add_f32_e32 v59, v59, v61
	global_inv scope:SCOPE_SE
	v_fma_f32 v30, -0.5, v58, v30
	v_mul_f32_e32 v57, v28, v17
	v_mul_f32_e32 v48, v24, v19
	;; [unrolled: 1-line block ×4, first 2 shown]
	v_dual_add_f32 v61, v62, v61 :: v_dual_fmamk_f32 v62, v63, 0x3f5db3d7, v30
	v_dual_fmac_f32 v57, v29, v16 :: v_dual_fmac_f32 v30, 0xbf5db3d7, v63
	v_fmac_f32_e32 v48, v25, v18
	v_fma_f32 v28, v28, v16, -v66
	v_fma_f32 v24, v24, v18, -v67
	s_delay_alu instid0(VALU_DEP_3) | instskip(SKIP_1) | instid1(VALU_DEP_3)
	v_dual_fmac_f32 v31, -0.5, v59 :: v_dual_sub_f32 v58, v57, v48
	v_add_f32_e32 v29, v57, v48
	v_sub_f32_e32 v59, v28, v24
	s_delay_alu instid0(VALU_DEP_3)
	v_fmamk_f32 v63, v47, 0xbf5db3d7, v31
	v_fmac_f32_e32 v31, 0x3f5db3d7, v47
	v_mad_u16 v47, 0xe1, v64, v65
	v_fma_f32 v29, -0.5, v29, v27
	v_add_f32_e32 v25, v28, v24
	ds_store_2addr_b64 v56, v[60:61], v[62:63] offset1:75
	ds_store_b64 v56, v[30:31] offset:1200
	v_fmamk_f32 v44, v59, 0x3f5db3d7, v29
	v_fma_f32 v25, -0.5, v25, v26
	s_delay_alu instid0(VALU_DEP_1)
	v_fmamk_f32 v43, v58, 0xbf5db3d7, v25
	s_and_saveexec_b32 s2, vcc_lo
	s_cbranch_execz .LBB0_9
; %bb.8:
	v_dual_mul_f32 v30, 0x3f5db3d7, v59 :: v_dual_add_f32 v27, v27, v57
	v_mul_f32_e32 v31, 0x3f5db3d7, v58
	v_dual_add_f32 v57, v26, v28 :: v_dual_and_b32 v58, 0xffff, v47
	s_delay_alu instid0(VALU_DEP_3) | instskip(NEXT) | instid1(VALU_DEP_3)
	v_add_f32_e32 v28, v27, v48
	v_dual_sub_f32 v26, v29, v30 :: v_dual_add_f32 v25, v31, v25
	s_delay_alu instid0(VALU_DEP_3)
	v_dual_add_f32 v27, v57, v24 :: v_dual_lshlrev_b32 v24, 3, v58
	ds_store_2addr_b64 v24, v[27:28], v[25:26] offset1:75
	ds_store_b64 v24, v[43:44] offset:1200
.LBB0_9:
	s_wait_alu 0xfffe
	s_or_b32 exec_lo, exec_lo, s2
	v_lshlrev_b32_e32 v24, 5, v49
	global_wb scope:SCOPE_SE
	s_wait_dscnt 0x0
	s_barrier_signal -1
	s_barrier_wait -1
	global_inv scope:SCOPE_SE
	s_clause 0x1
	global_load_b128 v[28:31], v24, s[10:11] offset:1760
	global_load_b128 v[24:27], v24, s[10:11] offset:1776
	v_add_nc_u32_e32 v48, 0xe00, v50
	s_add_nc_u64 s[2:3], s[8:9], 0x2328
	ds_load_2addr_b64 v[57:60], v50 offset1:225
	ds_load_2addr_b64 v[61:64], v48 offset0:2 offset1:227
	ds_load_b64 v[65:66], v50 offset:7200
	s_wait_loadcnt_dscnt 0x102
	v_mul_f32_e32 v67, v60, v29
	s_wait_loadcnt_dscnt 0x0
	v_dual_mul_f32 v68, v59, v29 :: v_dual_mul_f32 v73, v66, v27
	v_mul_f32_e32 v69, v62, v31
	v_dual_mul_f32 v70, v61, v31 :: v_dual_mul_f32 v71, v64, v25
	v_fma_f32 v59, v59, v28, -v67
	s_delay_alu instid0(VALU_DEP_4) | instskip(NEXT) | instid1(VALU_DEP_4)
	v_fmac_f32_e32 v68, v60, v28
	v_fma_f32 v60, v61, v30, -v69
	v_mul_f32_e32 v72, v63, v25
	v_fma_f32 v61, v63, v24, -v71
	v_mul_f32_e32 v74, v65, v27
	v_fma_f32 v65, v65, v26, -v73
	v_dual_fmac_f32 v70, v62, v30 :: v_dual_sub_f32 v73, v60, v59
	s_delay_alu instid0(VALU_DEP_3) | instskip(NEXT) | instid1(VALU_DEP_3)
	v_dual_add_f32 v63, v60, v61 :: v_dual_fmac_f32 v74, v66, v26
	v_dual_sub_f32 v75, v61, v65 :: v_dual_fmac_f32 v72, v64, v24
	v_dual_add_f32 v71, v59, v65 :: v_dual_add_f32 v62, v57, v59
	v_dual_sub_f32 v64, v59, v60 :: v_dual_sub_f32 v79, v60, v61
	v_sub_f32_e32 v69, v65, v61
	v_sub_f32_e32 v78, v59, v65
	v_fma_f32 v59, -0.5, v63, v57
	v_fma_f32 v57, -0.5, v71, v57
	v_add_f32_e32 v71, v73, v75
	v_dual_sub_f32 v81, v74, v72 :: v_dual_sub_f32 v66, v68, v74
	v_add_f32_e32 v77, v70, v72
	v_sub_f32_e32 v67, v70, v72
	v_dual_add_f32 v76, v58, v68 :: v_dual_sub_f32 v83, v72, v74
	v_add_f32_e32 v82, v68, v74
	v_add_f32_e32 v62, v62, v60
	v_sub_f32_e32 v80, v68, v70
	v_fma_f32 v60, -0.5, v77, v58
	v_dual_sub_f32 v68, v70, v68 :: v_dual_add_f32 v69, v64, v69
	v_dual_add_f32 v64, v76, v70 :: v_dual_fmamk_f32 v63, v67, 0xbf737871, v57
	v_add_f32_e32 v73, v62, v61
	v_fmamk_f32 v61, v66, 0x3f737871, v59
	v_fma_f32 v58, -0.5, v82, v58
	v_dual_add_f32 v70, v80, v81 :: v_dual_fmac_f32 v57, 0x3f737871, v67
	v_dual_fmamk_f32 v62, v78, 0xbf737871, v60 :: v_dual_fmac_f32 v59, 0xbf737871, v66
	s_delay_alu instid0(VALU_DEP_4) | instskip(NEXT) | instid1(VALU_DEP_4)
	v_dual_add_f32 v72, v64, v72 :: v_dual_fmac_f32 v61, 0x3f167918, v67
	v_fmamk_f32 v64, v79, 0x3f737871, v58
	v_fmac_f32_e32 v58, 0xbf737871, v79
	v_fmac_f32_e32 v60, 0x3f737871, v78
	v_dual_fmac_f32 v57, 0xbf167918, v66 :: v_dual_fmac_f32 v62, 0xbf167918, v79
	v_dual_add_f32 v68, v68, v83 :: v_dual_add_f32 v65, v73, v65
	v_fmac_f32_e32 v59, 0xbf167918, v67
	s_delay_alu instid0(VALU_DEP_4) | instskip(SKIP_4) | instid1(VALU_DEP_4)
	v_dual_fmac_f32 v63, 0x3f167918, v66 :: v_dual_fmac_f32 v60, 0x3f167918, v79
	v_fmac_f32_e32 v64, 0xbf167918, v78
	v_fmac_f32_e32 v58, 0x3f167918, v78
	v_dual_add_f32 v66, v72, v74 :: v_dual_fmac_f32 v61, 0x3e9e377a, v69
	v_dual_fmac_f32 v62, 0x3e9e377a, v70 :: v_dual_fmac_f32 v59, 0x3e9e377a, v69
	v_dual_fmac_f32 v64, 0x3e9e377a, v68 :: v_dual_fmac_f32 v63, 0x3e9e377a, v71
	s_delay_alu instid0(VALU_DEP_4)
	v_dual_fmac_f32 v58, 0x3e9e377a, v68 :: v_dual_fmac_f32 v57, 0x3e9e377a, v71
	v_fmac_f32_e32 v60, 0x3e9e377a, v70
	ds_store_2addr_b64 v50, v[65:66], v[61:62] offset1:225
	ds_store_2addr_b64 v48, v[63:64], v[57:58] offset0:2 offset1:227
	ds_store_b64 v50, v[59:60] offset:7200
	global_wb scope:SCOPE_SE
	s_wait_dscnt 0x0
	s_barrier_signal -1
	s_barrier_wait -1
	global_inv scope:SCOPE_SE
	s_clause 0x4
	global_load_b64 v[45:46], v[45:46], off offset:9000
	global_load_b64 v[61:62], v50, s[2:3] offset:1800
	global_load_b64 v[63:64], v50, s[2:3] offset:3600
	;; [unrolled: 1-line block ×4, first 2 shown]
	ds_load_2addr_b64 v[57:60], v50 offset1:225
	s_wait_loadcnt_dscnt 0x400
	v_mul_f32_e32 v69, v58, v46
	v_mul_f32_e32 v70, v57, v46
	s_wait_loadcnt 0x3
	v_mul_f32_e32 v71, v60, v62
	v_mul_f32_e32 v46, v59, v62
	v_fma_f32 v69, v57, v45, -v69
	v_fmac_f32_e32 v70, v58, v45
	s_delay_alu instid0(VALU_DEP_4) | instskip(NEXT) | instid1(VALU_DEP_4)
	v_fma_f32 v45, v59, v61, -v71
	v_fmac_f32_e32 v46, v60, v61
	ds_store_2addr_b64 v50, v[69:70], v[45:46] offset1:225
	ds_load_2addr_b64 v[57:60], v48 offset0:2 offset1:227
	ds_load_b64 v[45:46], v50 offset:7200
	s_wait_loadcnt_dscnt 0x201
	v_mul_f32_e32 v61, v58, v64
	s_wait_loadcnt 0x1
	v_dual_mul_f32 v62, v57, v64 :: v_dual_mul_f32 v69, v60, v66
	v_mul_f32_e32 v64, v59, v66
	s_wait_loadcnt_dscnt 0x0
	v_mul_f32_e32 v70, v46, v68
	v_mul_f32_e32 v66, v45, v68
	v_fma_f32 v61, v57, v63, -v61
	v_fmac_f32_e32 v62, v58, v63
	v_fma_f32 v63, v59, v65, -v69
	v_fmac_f32_e32 v64, v60, v65
	;; [unrolled: 2-line block ×3, first 2 shown]
	ds_store_2addr_b64 v48, v[61:62], v[63:64] offset0:2 offset1:227
	ds_store_b64 v50, v[65:66] offset:7200
	global_wb scope:SCOPE_SE
	s_wait_dscnt 0x0
	s_barrier_signal -1
	s_barrier_wait -1
	global_inv scope:SCOPE_SE
	ds_load_2addr_b64 v[57:60], v50 offset1:225
	ds_load_2addr_b64 v[61:64], v48 offset0:2 offset1:227
	ds_load_b64 v[45:46], v50 offset:7200
	global_wb scope:SCOPE_SE
	s_wait_dscnt 0x0
	s_barrier_signal -1
	s_barrier_wait -1
	global_inv scope:SCOPE_SE
	v_add_f32_e32 v65, v57, v59
	v_dual_add_f32 v66, v61, v63 :: v_dual_sub_f32 v79, v46, v64
	v_add_f32_e32 v71, v59, v45
	v_sub_f32_e32 v67, v60, v46
	v_dual_sub_f32 v69, v59, v61 :: v_dual_sub_f32 v72, v61, v59
	v_dual_sub_f32 v76, v59, v45 :: v_dual_sub_f32 v77, v61, v63
	v_add_f32_e32 v61, v65, v61
	v_fma_f32 v59, -0.5, v66, v57
	v_sub_f32_e32 v68, v62, v64
	v_fma_f32 v57, -0.5, v71, v57
	v_add_f32_e32 v75, v62, v64
	v_dual_add_f32 v71, v61, v63 :: v_dual_add_f32 v74, v58, v60
	v_fmamk_f32 v61, v67, 0xbf737871, v59
	v_fmac_f32_e32 v59, 0x3f737871, v67
	v_dual_sub_f32 v70, v45, v63 :: v_dual_sub_f32 v73, v63, v45
	v_fmamk_f32 v63, v68, 0x3f737871, v57
	v_add_f32_e32 v80, v60, v46
	s_delay_alu instid0(VALU_DEP_4)
	v_dual_sub_f32 v78, v60, v62 :: v_dual_fmac_f32 v59, 0x3f167918, v68
	v_sub_f32_e32 v81, v62, v60
	v_add_f32_e32 v65, v69, v70
	v_fma_f32 v60, -0.5, v75, v58
	v_add_f32_e32 v45, v71, v45
	v_dual_fmac_f32 v61, 0xbf167918, v68 :: v_dual_add_f32 v62, v74, v62
	v_fmac_f32_e32 v63, 0xbf167918, v67
	v_fma_f32 v58, -0.5, v80, v58
	v_fmac_f32_e32 v57, 0xbf737871, v68
	s_delay_alu instid0(VALU_DEP_4)
	v_fmac_f32_e32 v61, 0x3e9e377a, v65
	v_add_f32_e32 v66, v72, v73
	v_add_f32_e32 v72, v62, v64
	v_fmamk_f32 v62, v76, 0x3f737871, v60
	v_dual_sub_f32 v82, v64, v46 :: v_dual_fmac_f32 v57, 0x3f167918, v67
	v_fmamk_f32 v64, v77, 0xbf737871, v58
	v_fmac_f32_e32 v58, 0x3f737871, v77
	v_dual_fmac_f32 v60, 0xbf737871, v76 :: v_dual_add_f32 v69, v78, v79
	v_fmac_f32_e32 v62, 0x3f167918, v77
	v_dual_add_f32 v70, v81, v82 :: v_dual_fmac_f32 v59, 0x3e9e377a, v65
	v_fmac_f32_e32 v64, 0x3f167918, v76
	v_fmac_f32_e32 v58, 0xbf167918, v76
	;; [unrolled: 1-line block ×4, first 2 shown]
	v_add_f32_e32 v46, v72, v46
	v_dual_fmac_f32 v57, 0x3e9e377a, v66 :: v_dual_fmac_f32 v62, 0x3e9e377a, v69
	v_fmac_f32_e32 v64, 0x3e9e377a, v70
	v_fmac_f32_e32 v58, 0x3e9e377a, v70
	;; [unrolled: 1-line block ×3, first 2 shown]
	ds_store_2addr_b64 v52, v[45:46], v[61:62] offset1:1
	ds_store_2addr_b64 v52, v[63:64], v[57:58] offset0:2 offset1:3
	ds_store_b64 v52, v[59:60] offset:32
	global_wb scope:SCOPE_SE
	s_wait_dscnt 0x0
	s_barrier_signal -1
	s_barrier_wait -1
	global_inv scope:SCOPE_SE
	ds_load_2addr_b64 v[57:60], v50 offset1:225
	ds_load_2addr_b64 v[61:64], v48 offset0:2 offset1:227
	ds_load_b64 v[45:46], v50 offset:7200
	global_wb scope:SCOPE_SE
	s_wait_dscnt 0x0
	s_barrier_signal -1
	s_barrier_wait -1
	global_inv scope:SCOPE_SE
	v_dual_mul_f32 v52, v7, v62 :: v_dual_mul_f32 v65, v1, v64
	v_mul_f32_e32 v7, v7, v61
	s_delay_alu instid0(VALU_DEP_2) | instskip(NEXT) | instid1(VALU_DEP_3)
	v_dual_mul_f32 v1, v1, v63 :: v_dual_fmac_f32 v52, v6, v61
	v_dual_fmac_f32 v65, v0, v63 :: v_dual_mul_f32 v48, v5, v60
	v_dual_mul_f32 v5, v5, v59 :: v_dual_mul_f32 v66, v3, v46
	v_mul_f32_e32 v3, v3, v45
	s_delay_alu instid0(VALU_DEP_3) | instskip(NEXT) | instid1(VALU_DEP_3)
	v_sub_f32_e32 v67, v52, v65
	v_fmac_f32_e32 v66, v2, v45
	s_delay_alu instid0(VALU_DEP_3)
	v_fma_f32 v46, v2, v46, -v3
	v_fmac_f32_e32 v48, v4, v59
	v_fma_f32 v4, v4, v60, -v5
	v_fma_f32 v5, v6, v62, -v7
	;; [unrolled: 1-line block ×3, first 2 shown]
	v_add_f32_e32 v1, v52, v65
	s_delay_alu instid0(VALU_DEP_4) | instskip(NEXT) | instid1(VALU_DEP_3)
	v_dual_add_f32 v70, v4, v46 :: v_dual_add_f32 v63, v58, v4
	v_dual_sub_f32 v71, v7, v46 :: v_dual_add_f32 v0, v57, v48
	v_sub_f32_e32 v3, v48, v52
	v_add_f32_e32 v45, v48, v66
	v_sub_f32_e32 v61, v52, v48
	v_sub_f32_e32 v48, v48, v66
	v_add_f32_e32 v64, v5, v7
	v_fma_f32 v2, -0.5, v1, v57
	v_fma_f32 v1, -0.5, v70, v58
	v_dual_sub_f32 v6, v66, v65 :: v_dual_sub_f32 v59, v4, v46
	v_sub_f32_e32 v68, v4, v5
	v_dual_sub_f32 v4, v5, v4 :: v_dual_sub_f32 v69, v46, v7
	s_delay_alu instid0(VALU_DEP_3) | instskip(SKIP_4) | instid1(VALU_DEP_2)
	v_add_f32_e32 v72, v3, v6
	v_fma_f32 v3, -0.5, v64, v58
	v_dual_sub_f32 v60, v5, v7 :: v_dual_add_f32 v5, v63, v5
	v_add_f32_e32 v52, v0, v52
	v_fma_f32 v0, -0.5, v45, v57
	v_dual_add_f32 v45, v52, v65 :: v_dual_add_f32 v52, v5, v7
	v_dual_fmamk_f32 v5, v48, 0x3f737871, v3 :: v_dual_sub_f32 v62, v65, v66
	v_fmamk_f32 v7, v67, 0xbf737871, v1
	v_fmac_f32_e32 v1, 0x3f737871, v67
	s_delay_alu instid0(VALU_DEP_4) | instskip(NEXT) | instid1(VALU_DEP_4)
	v_add_f32_e32 v45, v45, v66
	v_fmac_f32_e32 v5, 0x3f167918, v67
	v_add_f32_e32 v57, v61, v62
	v_add_f32_e32 v61, v68, v69
	v_fmac_f32_e32 v3, 0xbf737871, v48
	v_fmamk_f32 v6, v60, 0x3f737871, v0
	v_fmac_f32_e32 v0, 0xbf737871, v60
	v_fmac_f32_e32 v1, 0xbf167918, v48
	;; [unrolled: 1-line block ×4, first 2 shown]
	v_add_f32_e32 v58, v4, v71
	v_fmamk_f32 v4, v59, 0xbf737871, v2
	v_fmac_f32_e32 v2, 0x3f737871, v59
	v_fmac_f32_e32 v6, 0xbf167918, v59
	;; [unrolled: 1-line block ×8, first 2 shown]
	v_add_f32_e32 v46, v52, v46
	v_fmac_f32_e32 v4, 0x3e9e377a, v72
	v_fmac_f32_e32 v6, 0x3e9e377a, v57
	v_dual_fmac_f32 v0, 0x3e9e377a, v57 :: v_dual_fmac_f32 v7, 0x3e9e377a, v58
	v_fmac_f32_e32 v2, 0x3e9e377a, v72
	ds_store_2addr_b64 v51, v[45:46], v[4:5] offset1:5
	ds_store_2addr_b64 v51, v[6:7], v[0:1] offset0:10 offset1:15
	ds_store_b64 v51, v[2:3] offset:160
	global_wb scope:SCOPE_SE
	s_wait_dscnt 0x0
	s_barrier_signal -1
	s_barrier_wait -1
	global_inv scope:SCOPE_SE
	ds_load_b64 v[6:7], v50
	ds_load_b64 v[45:46], v50 offset:3000
	ds_load_b64 v[4:5], v50 offset:6000
	s_and_saveexec_b32 s2, vcc_lo
	s_cbranch_execz .LBB0_11
; %bb.10:
	ds_load_b64 v[0:1], v50 offset:1800
	ds_load_b64 v[2:3], v50 offset:4800
	;; [unrolled: 1-line block ×3, first 2 shown]
.LBB0_11:
	s_wait_alu 0xfffe
	s_or_b32 exec_lo, exec_lo, s2
	s_wait_dscnt 0x0
	v_dual_mul_f32 v48, v13, v46 :: v_dual_mul_f32 v51, v15, v5
	v_mul_f32_e32 v13, v13, v45
	v_mul_f32_e32 v15, v15, v4
	global_wb scope:SCOPE_SE
	v_dual_fmac_f32 v48, v12, v45 :: v_dual_fmac_f32 v51, v14, v4
	v_mul_f32_e32 v4, v9, v2
	v_fma_f32 v5, v14, v5, -v15
	v_mul_f32_e32 v14, v11, v44
	v_fma_f32 v12, v12, v46, -v13
	;; [unrolled: 2-line block ×3, first 2 shown]
	v_add_f32_e32 v4, v48, v51
	s_barrier_signal -1
	v_add_f32_e32 v9, v7, v12
	v_dual_fmac_f32 v13, v8, v2 :: v_dual_mul_f32 v2, v11, v43
	v_add_f32_e32 v8, v6, v48
	v_fma_f32 v6, -0.5, v4, v6
	s_delay_alu instid0(VALU_DEP_4)
	v_add_f32_e32 v9, v9, v5
	s_barrier_wait -1
	v_fma_f32 v15, v10, v44, -v2
	v_add_f32_e32 v2, v12, v5
	v_fmac_f32_e32 v14, v10, v43
	v_add_f32_e32 v8, v8, v51
	global_inv scope:SCOPE_SE
	v_dual_fmac_f32 v7, -0.5, v2 :: v_dual_sub_f32 v2, v48, v51
	v_sub_f32_e32 v4, v12, v5
	v_add_f32_e32 v5, v0, v13
	s_delay_alu instid0(VALU_DEP_3) | instskip(NEXT) | instid1(VALU_DEP_3)
	v_fmamk_f32 v11, v2, 0x3f5db3d7, v7
	v_fmamk_f32 v10, v4, 0xbf5db3d7, v6
	v_fmac_f32_e32 v6, 0x3f5db3d7, v4
	v_add_f32_e32 v4, v13, v14
	v_sub_f32_e32 v13, v13, v14
	v_dual_fmac_f32 v7, 0xbf5db3d7, v2 :: v_dual_add_f32 v2, v3, v15
	v_sub_f32_e32 v12, v3, v15
	v_add_f32_e32 v3, v1, v3
	ds_store_2addr_b64 v55, v[8:9], v[10:11] offset1:25
	ds_store_b64 v55, v[6:7] offset:400
	v_fmac_f32_e32 v1, -0.5, v2
	v_dual_add_f32 v2, v5, v14 :: v_dual_add_f32 v3, v3, v15
	s_delay_alu instid0(VALU_DEP_2) | instskip(NEXT) | instid1(VALU_DEP_1)
	v_dual_fmac_f32 v0, -0.5, v4 :: v_dual_fmamk_f32 v5, v13, 0x3f5db3d7, v1
	v_dual_fmac_f32 v1, 0xbf5db3d7, v13 :: v_dual_fmamk_f32 v4, v12, 0xbf5db3d7, v0
	v_fmac_f32_e32 v0, 0x3f5db3d7, v12
	s_and_saveexec_b32 s2, vcc_lo
	s_cbranch_execz .LBB0_13
; %bb.12:
	v_mad_u16 v6, 0x4b, v53, v54
	s_delay_alu instid0(VALU_DEP_1) | instskip(NEXT) | instid1(VALU_DEP_1)
	v_and_b32_e32 v6, 0xffff, v6
	v_lshlrev_b32_e32 v6, 3, v6
	ds_store_2addr_b64 v6, v[2:3], v[4:5] offset1:25
	ds_store_b64 v6, v[0:1] offset:400
.LBB0_13:
	s_wait_alu 0xfffe
	s_or_b32 exec_lo, exec_lo, s2
	global_wb scope:SCOPE_SE
	s_wait_dscnt 0x0
	s_barrier_signal -1
	s_barrier_wait -1
	global_inv scope:SCOPE_SE
	ds_load_b64 v[6:7], v50
	ds_load_b64 v[8:9], v50 offset:3000
	ds_load_b64 v[10:11], v50 offset:6000
	s_and_saveexec_b32 s2, vcc_lo
	s_cbranch_execz .LBB0_15
; %bb.14:
	ds_load_b64 v[2:3], v50 offset:1800
	ds_load_b64 v[4:5], v50 offset:4800
	;; [unrolled: 1-line block ×3, first 2 shown]
.LBB0_15:
	s_wait_alu 0xfffe
	s_or_b32 exec_lo, exec_lo, s2
	s_wait_dscnt 0x0
	v_dual_mul_f32 v12, v21, v9 :: v_dual_mul_f32 v13, v23, v11
	v_dual_mul_f32 v14, v21, v8 :: v_dual_mul_f32 v15, v23, v10
	global_wb scope:SCOPE_SE
	v_dual_fmac_f32 v12, v20, v8 :: v_dual_fmac_f32 v13, v22, v10
	v_fma_f32 v8, v20, v9, -v14
	v_fma_f32 v9, v22, v11, -v15
	s_barrier_signal -1
	s_delay_alu instid0(VALU_DEP_3) | instskip(SKIP_1) | instid1(VALU_DEP_3)
	v_dual_add_f32 v11, v6, v12 :: v_dual_add_f32 v10, v12, v13
	v_sub_f32_e32 v12, v12, v13
	v_add_f32_e32 v14, v8, v9
	v_dual_sub_f32 v15, v8, v9 :: v_dual_add_f32 v20, v7, v8
	s_delay_alu instid0(VALU_DEP_4) | instskip(SKIP_1) | instid1(VALU_DEP_3)
	v_fma_f32 v6, -0.5, v10, v6
	s_barrier_wait -1
	v_dual_fmac_f32 v7, -0.5, v14 :: v_dual_add_f32 v8, v11, v13
	s_delay_alu instid0(VALU_DEP_2) | instskip(NEXT) | instid1(VALU_DEP_2)
	v_dual_add_f32 v9, v20, v9 :: v_dual_fmamk_f32 v10, v15, 0xbf5db3d7, v6
	v_dual_fmac_f32 v6, 0x3f5db3d7, v15 :: v_dual_fmamk_f32 v11, v12, 0x3f5db3d7, v7
	v_fmac_f32_e32 v7, 0xbf5db3d7, v12
	global_inv scope:SCOPE_SE
	ds_store_2addr_b64 v56, v[8:9], v[10:11] offset1:75
	ds_store_b64 v56, v[6:7] offset:1200
	s_and_saveexec_b32 s2, vcc_lo
	s_cbranch_execz .LBB0_17
; %bb.16:
	v_dual_mul_f32 v6, v17, v4 :: v_dual_mul_f32 v9, v19, v1
	v_dual_mul_f32 v7, v19, v0 :: v_dual_mul_f32 v8, v17, v5
	s_delay_alu instid0(VALU_DEP_2) | instskip(NEXT) | instid1(VALU_DEP_2)
	v_fma_f32 v5, v16, v5, -v6
	v_fma_f32 v6, v18, v1, -v7
	s_delay_alu instid0(VALU_DEP_3) | instskip(SKIP_1) | instid1(VALU_DEP_3)
	v_dual_fmac_f32 v8, v16, v4 :: v_dual_and_b32 v7, 0xffff, v47
	v_fmac_f32_e32 v9, v18, v0
	v_dual_add_f32 v11, v3, v5 :: v_dual_sub_f32 v12, v5, v6
	v_add_f32_e32 v0, v5, v6
	s_delay_alu instid0(VALU_DEP_3) | instskip(SKIP_1) | instid1(VALU_DEP_3)
	v_add_f32_e32 v4, v8, v9
	v_sub_f32_e32 v10, v8, v9
	v_fma_f32 v1, -0.5, v0, v3
	v_add_f32_e32 v3, v11, v6
	s_delay_alu instid0(VALU_DEP_4) | instskip(SKIP_1) | instid1(VALU_DEP_4)
	v_fma_f32 v0, -0.5, v4, v2
	v_add_f32_e32 v2, v2, v8
	v_dual_fmamk_f32 v5, v10, 0xbf5db3d7, v1 :: v_dual_lshlrev_b32 v6, 3, v7
	s_delay_alu instid0(VALU_DEP_3) | instskip(NEXT) | instid1(VALU_DEP_3)
	v_dual_fmac_f32 v1, 0x3f5db3d7, v10 :: v_dual_fmamk_f32 v4, v12, 0x3f5db3d7, v0
	v_add_f32_e32 v2, v2, v9
	v_fmac_f32_e32 v0, 0xbf5db3d7, v12
	ds_store_2addr_b64 v6, v[2:3], v[0:1] offset1:75
	ds_store_b64 v6, v[4:5] offset:1200
.LBB0_17:
	s_wait_alu 0xfffe
	s_or_b32 exec_lo, exec_lo, s2
	global_wb scope:SCOPE_SE
	s_wait_dscnt 0x0
	s_barrier_signal -1
	s_barrier_wait -1
	global_inv scope:SCOPE_SE
	ds_load_2addr_b64 v[0:3], v50 offset1:225
	v_add_nc_u32_e32 v10, 0xe00, v50
	s_mov_b32 s2, 0x5a912e32
	s_mov_b32 s3, 0x3f4d208a
	s_wait_dscnt 0x0
	v_mul_f32_e32 v11, v29, v3
	ds_load_b64 v[8:9], v50 offset:7200
	ds_load_2addr_b64 v[4:7], v10 offset0:2 offset1:227
	v_mul_f32_e32 v12, v29, v2
	v_fmac_f32_e32 v11, v28, v2
	s_wait_dscnt 0x1
	v_mul_f32_e32 v13, v27, v9
	v_mul_f32_e32 v14, v27, v8
	v_fma_f32 v12, v28, v3, -v12
	s_wait_dscnt 0x0
	v_dual_mul_f32 v3, v31, v5 :: v_dual_mul_f32 v16, v25, v6
	v_dual_mul_f32 v2, v31, v4 :: v_dual_mul_f32 v15, v25, v7
	v_fmac_f32_e32 v13, v26, v8
	v_fma_f32 v9, v26, v9, -v14
	s_delay_alu instid0(VALU_DEP_4) | instskip(NEXT) | instid1(VALU_DEP_4)
	v_fma_f32 v16, v24, v7, -v16
	v_fma_f32 v14, v30, v5, -v2
	v_dual_add_f32 v2, v0, v11 :: v_dual_fmac_f32 v3, v30, v4
	v_dual_add_f32 v4, v11, v13 :: v_dual_fmac_f32 v15, v24, v6
	v_dual_add_f32 v5, v1, v12 :: v_dual_add_f32 v18, v12, v9
	s_delay_alu instid0(VALU_DEP_3) | instskip(NEXT) | instid1(VALU_DEP_3)
	v_dual_add_f32 v6, v2, v3 :: v_dual_sub_f32 v7, v12, v9
	v_add_f32_e32 v8, v3, v15
	v_sub_f32_e32 v17, v11, v13
	v_dual_sub_f32 v19, v14, v16 :: v_dual_sub_f32 v20, v11, v3
	v_fma_f32 v2, -0.5, v4, v0
	v_add_f32_e32 v23, v5, v14
	v_fma_f32 v4, -0.5, v8, v0
	v_add_f32_e32 v5, v14, v16
	v_add_f32_e32 v8, v6, v15
	v_dual_sub_f32 v21, v13, v15 :: v_dual_sub_f32 v22, v15, v13
	v_sub_f32_e32 v11, v3, v11
	v_fmamk_f32 v0, v19, 0x3f737871, v2
	v_fmamk_f32 v6, v7, 0xbf737871, v4
	s_delay_alu instid0(VALU_DEP_4)
	v_add_f32_e32 v20, v20, v21
	v_fmac_f32_e32 v2, 0xbf737871, v19
	v_fma_f32 v5, -0.5, v5, v1
	v_dual_add_f32 v8, v8, v13 :: v_dual_sub_f32 v13, v3, v15
	v_fma_f32 v3, -0.5, v18, v1
	v_sub_f32_e32 v18, v9, v16
	v_dual_fmac_f32 v4, 0x3f737871, v7 :: v_dual_add_f32 v11, v11, v22
	v_dual_fmac_f32 v6, 0xbf167918, v19 :: v_dual_sub_f32 v15, v12, v14
	v_fmac_f32_e32 v0, 0xbf167918, v7
	v_dual_fmamk_f32 v1, v13, 0xbf737871, v3 :: v_dual_sub_f32 v12, v14, v12
	v_fmac_f32_e32 v2, 0x3f167918, v7
	v_fmamk_f32 v7, v17, 0x3f737871, v5
	v_fmac_f32_e32 v5, 0xbf737871, v17
	v_dual_add_f32 v15, v15, v18 :: v_dual_fmac_f32 v4, 0x3f167918, v19
	v_fmac_f32_e32 v1, 0x3f167918, v17
	s_delay_alu instid0(VALU_DEP_4) | instskip(NEXT) | instid1(VALU_DEP_4)
	v_fmac_f32_e32 v7, 0x3f167918, v13
	v_fmac_f32_e32 v5, 0xbf167918, v13
	v_sub_f32_e32 v14, v16, v9
	s_delay_alu instid0(VALU_DEP_3) | instskip(NEXT) | instid1(VALU_DEP_3)
	v_dual_fmac_f32 v4, 0x3e9e377a, v20 :: v_dual_fmac_f32 v7, 0x3e9e377a, v15
	v_fmac_f32_e32 v5, 0x3e9e377a, v15
	s_delay_alu instid0(VALU_DEP_3) | instskip(SKIP_1) | instid1(VALU_DEP_2)
	v_dual_fmac_f32 v3, 0x3f737871, v13 :: v_dual_add_f32 v12, v12, v14
	v_fmac_f32_e32 v0, 0x3e9e377a, v11
	v_fmac_f32_e32 v3, 0xbf167918, v17
	v_dual_fmac_f32 v2, 0x3e9e377a, v11 :: v_dual_add_f32 v11, v23, v16
	v_fmac_f32_e32 v6, 0x3e9e377a, v20
	v_fmac_f32_e32 v1, 0x3e9e377a, v12
	s_delay_alu instid0(VALU_DEP_4)
	v_fmac_f32_e32 v3, 0x3e9e377a, v12
	v_mad_co_u64_u32 v[20:21], null, s6, v32, 0
	v_add_f32_e32 v9, v11, v9
	ds_store_2addr_b64 v50, v[8:9], v[6:7] offset1:225
	ds_store_2addr_b64 v10, v[0:1], v[2:3] offset0:2 offset1:227
	ds_store_b64 v50, v[4:5] offset:7200
	global_wb scope:SCOPE_SE
	s_wait_dscnt 0x0
	s_barrier_signal -1
	s_barrier_wait -1
	global_inv scope:SCOPE_SE
	ds_load_2addr_b64 v[0:3], v50 offset1:225
	ds_load_2addr_b64 v[4:7], v10 offset0:2 offset1:227
	ds_load_b64 v[8:9], v50 offset:7200
	v_mad_co_u64_u32 v[22:23], null, s4, v49, 0
	s_delay_alu instid0(VALU_DEP_1) | instskip(NEXT) | instid1(VALU_DEP_1)
	v_mad_co_u64_u32 v[24:25], null, s7, v32, v[21:22]
	v_mad_co_u64_u32 v[25:26], null, s5, v49, v[23:24]
	s_wait_dscnt 0x1
	v_dual_mul_f32 v11, v36, v0 :: v_dual_mul_f32 v14, v34, v5
	v_dual_mul_f32 v10, v36, v1 :: v_dual_mul_f32 v13, v38, v2
	v_mul_f32_e32 v12, v38, v3
	s_wait_dscnt 0x0
	v_dual_mul_f32 v16, v40, v7 :: v_dual_mul_f32 v19, v42, v8
	v_dual_fmac_f32 v14, v33, v4 :: v_dual_mul_f32 v17, v40, v6
	v_dual_mul_f32 v4, v34, v4 :: v_dual_mov_b32 v21, v24
	v_dual_mul_f32 v18, v42, v9 :: v_dual_mov_b32 v23, v25
	v_fmac_f32_e32 v10, v35, v0
	v_fma_f32 v11, v35, v1, -v11
	v_fmac_f32_e32 v12, v37, v2
	v_fma_f32 v13, v37, v3, -v13
	v_fma_f32 v4, v33, v5, -v4
	v_fmac_f32_e32 v16, v39, v6
	v_fma_f32 v17, v39, v7, -v17
	v_fmac_f32_e32 v18, v41, v8
	v_fma_f32 v19, v41, v9, -v19
	v_cvt_f64_f32_e32 v[0:1], v10
	v_cvt_f64_f32_e32 v[2:3], v11
	;; [unrolled: 1-line block ×10, first 2 shown]
	s_wait_alu 0xfffe
	v_mul_f64_e32 v[0:1], s[2:3], v[0:1]
	v_mul_f64_e32 v[2:3], s[2:3], v[2:3]
	;; [unrolled: 1-line block ×10, first 2 shown]
	v_cvt_f32_f64_e32 v0, v[0:1]
	v_cvt_f32_f64_e32 v1, v[2:3]
	;; [unrolled: 1-line block ×10, first 2 shown]
	v_lshlrev_b64_e32 v[8:9], 3, v[20:21]
	v_lshlrev_b64_e32 v[12:13], 3, v[22:23]
	s_delay_alu instid0(VALU_DEP_2) | instskip(SKIP_1) | instid1(VALU_DEP_3)
	v_add_co_u32 v8, vcc_lo, s0, v8
	s_wait_alu 0xfffd
	v_add_co_ci_u32_e32 v9, vcc_lo, s1, v9, vcc_lo
	s_mul_u64 s[0:1], s[4:5], 0x708
	s_delay_alu instid0(VALU_DEP_2) | instskip(SKIP_1) | instid1(VALU_DEP_2)
	v_add_co_u32 v8, vcc_lo, v8, v12
	s_wait_alu 0xfffd
	v_add_co_ci_u32_e32 v9, vcc_lo, v9, v13, vcc_lo
	s_wait_alu 0xfffe
	s_delay_alu instid0(VALU_DEP_2) | instskip(SKIP_1) | instid1(VALU_DEP_2)
	v_add_co_u32 v12, vcc_lo, v8, s0
	s_wait_alu 0xfffd
	v_add_co_ci_u32_e32 v13, vcc_lo, s1, v9, vcc_lo
	s_delay_alu instid0(VALU_DEP_2) | instskip(SKIP_1) | instid1(VALU_DEP_2)
	v_add_co_u32 v14, vcc_lo, v12, s0
	s_wait_alu 0xfffd
	v_add_co_ci_u32_e32 v15, vcc_lo, s1, v13, vcc_lo
	;; [unrolled: 4-line block ×4, first 2 shown]
	s_clause 0x4
	global_store_b64 v[8:9], v[0:1], off
	global_store_b64 v[12:13], v[2:3], off
	;; [unrolled: 1-line block ×5, first 2 shown]
.LBB0_18:
	s_nop 0
	s_sendmsg sendmsg(MSG_DEALLOC_VGPRS)
	s_endpgm
	.section	.rodata,"a",@progbits
	.p2align	6, 0x0
	.amdhsa_kernel bluestein_single_back_len1125_dim1_sp_op_CI_CI
		.amdhsa_group_segment_fixed_size 9000
		.amdhsa_private_segment_fixed_size 0
		.amdhsa_kernarg_size 104
		.amdhsa_user_sgpr_count 2
		.amdhsa_user_sgpr_dispatch_ptr 0
		.amdhsa_user_sgpr_queue_ptr 0
		.amdhsa_user_sgpr_kernarg_segment_ptr 1
		.amdhsa_user_sgpr_dispatch_id 0
		.amdhsa_user_sgpr_private_segment_size 0
		.amdhsa_wavefront_size32 1
		.amdhsa_uses_dynamic_stack 0
		.amdhsa_enable_private_segment 0
		.amdhsa_system_sgpr_workgroup_id_x 1
		.amdhsa_system_sgpr_workgroup_id_y 0
		.amdhsa_system_sgpr_workgroup_id_z 0
		.amdhsa_system_sgpr_workgroup_info 0
		.amdhsa_system_vgpr_workitem_id 0
		.amdhsa_next_free_vgpr 84
		.amdhsa_next_free_sgpr 20
		.amdhsa_reserve_vcc 1
		.amdhsa_float_round_mode_32 0
		.amdhsa_float_round_mode_16_64 0
		.amdhsa_float_denorm_mode_32 3
		.amdhsa_float_denorm_mode_16_64 3
		.amdhsa_fp16_overflow 0
		.amdhsa_workgroup_processor_mode 1
		.amdhsa_memory_ordered 1
		.amdhsa_forward_progress 0
		.amdhsa_round_robin_scheduling 0
		.amdhsa_exception_fp_ieee_invalid_op 0
		.amdhsa_exception_fp_denorm_src 0
		.amdhsa_exception_fp_ieee_div_zero 0
		.amdhsa_exception_fp_ieee_overflow 0
		.amdhsa_exception_fp_ieee_underflow 0
		.amdhsa_exception_fp_ieee_inexact 0
		.amdhsa_exception_int_div_zero 0
	.end_amdhsa_kernel
	.text
.Lfunc_end0:
	.size	bluestein_single_back_len1125_dim1_sp_op_CI_CI, .Lfunc_end0-bluestein_single_back_len1125_dim1_sp_op_CI_CI
                                        ; -- End function
	.section	.AMDGPU.csdata,"",@progbits
; Kernel info:
; codeLenInByte = 7024
; NumSgprs: 22
; NumVgprs: 84
; ScratchSize: 0
; MemoryBound: 0
; FloatMode: 240
; IeeeMode: 1
; LDSByteSize: 9000 bytes/workgroup (compile time only)
; SGPRBlocks: 2
; VGPRBlocks: 10
; NumSGPRsForWavesPerEU: 22
; NumVGPRsForWavesPerEU: 84
; Occupancy: 16
; WaveLimiterHint : 1
; COMPUTE_PGM_RSRC2:SCRATCH_EN: 0
; COMPUTE_PGM_RSRC2:USER_SGPR: 2
; COMPUTE_PGM_RSRC2:TRAP_HANDLER: 0
; COMPUTE_PGM_RSRC2:TGID_X_EN: 1
; COMPUTE_PGM_RSRC2:TGID_Y_EN: 0
; COMPUTE_PGM_RSRC2:TGID_Z_EN: 0
; COMPUTE_PGM_RSRC2:TIDIG_COMP_CNT: 0
	.text
	.p2alignl 7, 3214868480
	.fill 96, 4, 3214868480
	.type	__hip_cuid_d9046aacf1434bd2,@object ; @__hip_cuid_d9046aacf1434bd2
	.section	.bss,"aw",@nobits
	.globl	__hip_cuid_d9046aacf1434bd2
__hip_cuid_d9046aacf1434bd2:
	.byte	0                               ; 0x0
	.size	__hip_cuid_d9046aacf1434bd2, 1

	.ident	"AMD clang version 19.0.0git (https://github.com/RadeonOpenCompute/llvm-project roc-6.4.0 25133 c7fe45cf4b819c5991fe208aaa96edf142730f1d)"
	.section	".note.GNU-stack","",@progbits
	.addrsig
	.addrsig_sym __hip_cuid_d9046aacf1434bd2
	.amdgpu_metadata
---
amdhsa.kernels:
  - .args:
      - .actual_access:  read_only
        .address_space:  global
        .offset:         0
        .size:           8
        .value_kind:     global_buffer
      - .actual_access:  read_only
        .address_space:  global
        .offset:         8
        .size:           8
        .value_kind:     global_buffer
      - .actual_access:  read_only
        .address_space:  global
        .offset:         16
        .size:           8
        .value_kind:     global_buffer
      - .actual_access:  read_only
        .address_space:  global
        .offset:         24
        .size:           8
        .value_kind:     global_buffer
      - .actual_access:  read_only
        .address_space:  global
        .offset:         32
        .size:           8
        .value_kind:     global_buffer
      - .offset:         40
        .size:           8
        .value_kind:     by_value
      - .address_space:  global
        .offset:         48
        .size:           8
        .value_kind:     global_buffer
      - .address_space:  global
        .offset:         56
        .size:           8
        .value_kind:     global_buffer
      - .address_space:  global
        .offset:         64
        .size:           8
        .value_kind:     global_buffer
      - .address_space:  global
        .offset:         72
        .size:           8
        .value_kind:     global_buffer
      - .offset:         80
        .size:           4
        .value_kind:     by_value
      - .address_space:  global
        .offset:         88
        .size:           8
        .value_kind:     global_buffer
      - .address_space:  global
        .offset:         96
        .size:           8
        .value_kind:     global_buffer
    .group_segment_fixed_size: 9000
    .kernarg_segment_align: 8
    .kernarg_segment_size: 104
    .language:       OpenCL C
    .language_version:
      - 2
      - 0
    .max_flat_workgroup_size: 225
    .name:           bluestein_single_back_len1125_dim1_sp_op_CI_CI
    .private_segment_fixed_size: 0
    .sgpr_count:     22
    .sgpr_spill_count: 0
    .symbol:         bluestein_single_back_len1125_dim1_sp_op_CI_CI.kd
    .uniform_work_group_size: 1
    .uses_dynamic_stack: false
    .vgpr_count:     84
    .vgpr_spill_count: 0
    .wavefront_size: 32
    .workgroup_processor_mode: 1
amdhsa.target:   amdgcn-amd-amdhsa--gfx1201
amdhsa.version:
  - 1
  - 2
...

	.end_amdgpu_metadata
